;; amdgpu-corpus repo=ROCm/rocFFT kind=compiled arch=gfx906 opt=O3
	.text
	.amdgcn_target "amdgcn-amd-amdhsa--gfx906"
	.amdhsa_code_object_version 6
	.protected	fft_rtc_fwd_len216_factors_6_6_6_wgs_252_tpt_36_halfLds_half_op_CI_CI_unitstride_sbrr_C2R_dirReg ; -- Begin function fft_rtc_fwd_len216_factors_6_6_6_wgs_252_tpt_36_halfLds_half_op_CI_CI_unitstride_sbrr_C2R_dirReg
	.globl	fft_rtc_fwd_len216_factors_6_6_6_wgs_252_tpt_36_halfLds_half_op_CI_CI_unitstride_sbrr_C2R_dirReg
	.p2align	8
	.type	fft_rtc_fwd_len216_factors_6_6_6_wgs_252_tpt_36_halfLds_half_op_CI_CI_unitstride_sbrr_C2R_dirReg,@function
fft_rtc_fwd_len216_factors_6_6_6_wgs_252_tpt_36_halfLds_half_op_CI_CI_unitstride_sbrr_C2R_dirReg: ; @fft_rtc_fwd_len216_factors_6_6_6_wgs_252_tpt_36_halfLds_half_op_CI_CI_unitstride_sbrr_C2R_dirReg
; %bb.0:
	v_mul_u32_u24_e32 v1, 0x71d, v0
	s_load_dwordx4 s[8:11], s[4:5], 0x58
	s_load_dwordx4 s[12:15], s[4:5], 0x0
	;; [unrolled: 1-line block ×3, first 2 shown]
	v_lshrrev_b32_e32 v1, 16, v1
	v_mad_u64_u32 v[8:9], s[0:1], s6, 7, v[1:2]
	v_mov_b32_e32 v10, 0
	s_waitcnt lgkmcnt(0)
	v_cmp_lt_u64_e64 s[0:1], s[14:15], 2
	v_mov_b32_e32 v6, 0
	v_mov_b32_e32 v9, v10
	;; [unrolled: 1-line block ×5, first 2 shown]
	s_and_b64 vcc, exec, s[0:1]
	v_mov_b32_e32 v2, v7
	v_mov_b32_e32 v4, v9
	s_cbranch_vccnz .LBB0_8
; %bb.1:
	s_load_dwordx2 s[0:1], s[4:5], 0x10
	s_add_u32 s2, s18, 8
	s_addc_u32 s3, s19, 0
	s_add_u32 s6, s16, 8
	s_addc_u32 s7, s17, 0
	v_mov_b32_e32 v6, 0
	s_waitcnt lgkmcnt(0)
	s_add_u32 s20, s0, 8
	v_mov_b32_e32 v7, 0
	v_mov_b32_e32 v1, v6
	;; [unrolled: 1-line block ×3, first 2 shown]
	s_addc_u32 s21, s1, 0
	s_mov_b64 s[22:23], 1
	v_mov_b32_e32 v2, v7
	v_mov_b32_e32 v12, v8
.LBB0_2:                                ; =>This Inner Loop Header: Depth=1
	s_load_dwordx2 s[24:25], s[20:21], 0x0
                                        ; implicit-def: $vgpr3_vgpr4
	s_waitcnt lgkmcnt(0)
	v_or_b32_e32 v11, s25, v13
	v_cmp_ne_u64_e32 vcc, 0, v[10:11]
	s_and_saveexec_b64 s[0:1], vcc
	s_xor_b64 s[26:27], exec, s[0:1]
	s_cbranch_execz .LBB0_4
; %bb.3:                                ;   in Loop: Header=BB0_2 Depth=1
	v_cvt_f32_u32_e32 v3, s24
	v_cvt_f32_u32_e32 v4, s25
	s_sub_u32 s0, 0, s24
	s_subb_u32 s1, 0, s25
	v_mac_f32_e32 v3, 0x4f800000, v4
	v_rcp_f32_e32 v3, v3
	v_mul_f32_e32 v3, 0x5f7ffffc, v3
	v_mul_f32_e32 v4, 0x2f800000, v3
	v_trunc_f32_e32 v4, v4
	v_mac_f32_e32 v3, 0xcf800000, v4
	v_cvt_u32_f32_e32 v4, v4
	v_cvt_u32_f32_e32 v3, v3
	v_mul_lo_u32 v5, s0, v4
	v_mul_hi_u32 v9, s0, v3
	v_mul_lo_u32 v14, s1, v3
	v_mul_lo_u32 v11, s0, v3
	v_add_u32_e32 v5, v9, v5
	v_add_u32_e32 v5, v5, v14
	v_mul_hi_u32 v9, v3, v11
	v_mul_lo_u32 v14, v3, v5
	v_mul_hi_u32 v16, v3, v5
	v_mul_hi_u32 v15, v4, v11
	v_mul_lo_u32 v11, v4, v11
	v_mul_hi_u32 v17, v4, v5
	v_add_co_u32_e32 v9, vcc, v9, v14
	v_addc_co_u32_e32 v14, vcc, 0, v16, vcc
	v_mul_lo_u32 v5, v4, v5
	v_add_co_u32_e32 v9, vcc, v9, v11
	v_addc_co_u32_e32 v9, vcc, v14, v15, vcc
	v_addc_co_u32_e32 v11, vcc, 0, v17, vcc
	v_add_co_u32_e32 v5, vcc, v9, v5
	v_addc_co_u32_e32 v9, vcc, 0, v11, vcc
	v_add_co_u32_e32 v3, vcc, v3, v5
	v_addc_co_u32_e32 v4, vcc, v4, v9, vcc
	v_mul_lo_u32 v5, s0, v4
	v_mul_hi_u32 v9, s0, v3
	v_mul_lo_u32 v11, s1, v3
	v_mul_lo_u32 v14, s0, v3
	v_add_u32_e32 v5, v9, v5
	v_add_u32_e32 v5, v5, v11
	v_mul_lo_u32 v15, v3, v5
	v_mul_hi_u32 v16, v3, v14
	v_mul_hi_u32 v17, v3, v5
	;; [unrolled: 1-line block ×3, first 2 shown]
	v_mul_lo_u32 v14, v4, v14
	v_mul_hi_u32 v9, v4, v5
	v_add_co_u32_e32 v15, vcc, v16, v15
	v_addc_co_u32_e32 v16, vcc, 0, v17, vcc
	v_mul_lo_u32 v5, v4, v5
	v_add_co_u32_e32 v14, vcc, v15, v14
	v_addc_co_u32_e32 v11, vcc, v16, v11, vcc
	v_addc_co_u32_e32 v9, vcc, 0, v9, vcc
	v_add_co_u32_e32 v5, vcc, v11, v5
	v_addc_co_u32_e32 v9, vcc, 0, v9, vcc
	v_add_co_u32_e32 v5, vcc, v3, v5
	v_addc_co_u32_e32 v9, vcc, v4, v9, vcc
	v_mad_u64_u32 v[3:4], s[0:1], v12, v9, 0
	v_mul_hi_u32 v11, v12, v5
	v_mad_u64_u32 v[14:15], s[0:1], v13, v9, 0
	v_add_co_u32_e32 v11, vcc, v11, v3
	v_addc_co_u32_e32 v16, vcc, 0, v4, vcc
	v_mad_u64_u32 v[3:4], s[0:1], v13, v5, 0
	v_add_co_u32_e32 v3, vcc, v11, v3
	v_addc_co_u32_e32 v3, vcc, v16, v4, vcc
	v_addc_co_u32_e32 v4, vcc, 0, v15, vcc
	v_add_co_u32_e32 v5, vcc, v3, v14
	v_addc_co_u32_e32 v9, vcc, 0, v4, vcc
	v_mul_lo_u32 v11, s25, v5
	v_mul_lo_u32 v14, s24, v9
	v_mad_u64_u32 v[3:4], s[0:1], s24, v5, 0
	v_add3_u32 v4, v4, v14, v11
	v_sub_u32_e32 v11, v13, v4
	v_mov_b32_e32 v14, s25
	v_sub_co_u32_e32 v3, vcc, v12, v3
	v_subb_co_u32_e64 v11, s[0:1], v11, v14, vcc
	v_subrev_co_u32_e64 v14, s[0:1], s24, v3
	v_subbrev_co_u32_e64 v11, s[0:1], 0, v11, s[0:1]
	v_cmp_le_u32_e64 s[0:1], s25, v11
	v_cndmask_b32_e64 v15, 0, -1, s[0:1]
	v_cmp_le_u32_e64 s[0:1], s24, v14
	v_cndmask_b32_e64 v14, 0, -1, s[0:1]
	v_cmp_eq_u32_e64 s[0:1], s25, v11
	v_cndmask_b32_e64 v11, v15, v14, s[0:1]
	v_add_co_u32_e64 v14, s[0:1], 2, v5
	v_addc_co_u32_e64 v15, s[0:1], 0, v9, s[0:1]
	v_add_co_u32_e64 v16, s[0:1], 1, v5
	v_addc_co_u32_e64 v17, s[0:1], 0, v9, s[0:1]
	v_subb_co_u32_e32 v4, vcc, v13, v4, vcc
	v_cmp_ne_u32_e64 s[0:1], 0, v11
	v_cmp_le_u32_e32 vcc, s25, v4
	v_cndmask_b32_e64 v11, v17, v15, s[0:1]
	v_cndmask_b32_e64 v15, 0, -1, vcc
	v_cmp_le_u32_e32 vcc, s24, v3
	v_cndmask_b32_e64 v3, 0, -1, vcc
	v_cmp_eq_u32_e32 vcc, s25, v4
	v_cndmask_b32_e32 v3, v15, v3, vcc
	v_cmp_ne_u32_e32 vcc, 0, v3
	v_cndmask_b32_e64 v3, v16, v14, s[0:1]
	v_cndmask_b32_e32 v4, v9, v11, vcc
	v_cndmask_b32_e32 v3, v5, v3, vcc
.LBB0_4:                                ;   in Loop: Header=BB0_2 Depth=1
	s_andn2_saveexec_b64 s[0:1], s[26:27]
	s_cbranch_execz .LBB0_6
; %bb.5:                                ;   in Loop: Header=BB0_2 Depth=1
	v_cvt_f32_u32_e32 v3, s24
	s_sub_i32 s26, 0, s24
	v_rcp_iflag_f32_e32 v3, v3
	v_mul_f32_e32 v3, 0x4f7ffffe, v3
	v_cvt_u32_f32_e32 v3, v3
	v_mul_lo_u32 v4, s26, v3
	v_mul_hi_u32 v4, v3, v4
	v_add_u32_e32 v3, v3, v4
	v_mul_hi_u32 v3, v12, v3
	v_mul_lo_u32 v4, v3, s24
	v_add_u32_e32 v5, 1, v3
	v_sub_u32_e32 v4, v12, v4
	v_subrev_u32_e32 v9, s24, v4
	v_cmp_le_u32_e32 vcc, s24, v4
	v_cndmask_b32_e32 v4, v4, v9, vcc
	v_cndmask_b32_e32 v3, v3, v5, vcc
	v_add_u32_e32 v5, 1, v3
	v_cmp_le_u32_e32 vcc, s24, v4
	v_cndmask_b32_e32 v3, v3, v5, vcc
	v_mov_b32_e32 v4, v10
.LBB0_6:                                ;   in Loop: Header=BB0_2 Depth=1
	s_or_b64 exec, exec, s[0:1]
	v_mul_lo_u32 v5, v4, s24
	v_mul_lo_u32 v9, v3, s25
	v_mad_u64_u32 v[14:15], s[0:1], v3, s24, 0
	s_load_dwordx2 s[0:1], s[6:7], 0x0
	s_load_dwordx2 s[24:25], s[2:3], 0x0
	v_add3_u32 v5, v15, v9, v5
	v_sub_co_u32_e32 v9, vcc, v12, v14
	v_subb_co_u32_e32 v5, vcc, v13, v5, vcc
	s_waitcnt lgkmcnt(0)
	v_mul_lo_u32 v11, s0, v5
	v_mul_lo_u32 v12, s1, v9
	v_mad_u64_u32 v[6:7], s[0:1], s0, v9, v[6:7]
	s_add_u32 s22, s22, 1
	s_addc_u32 s23, s23, 0
	s_add_u32 s2, s2, 8
	v_mul_lo_u32 v5, s24, v5
	v_mul_lo_u32 v13, s25, v9
	v_mad_u64_u32 v[1:2], s[0:1], s24, v9, v[1:2]
	v_add3_u32 v7, v12, v7, v11
	s_addc_u32 s3, s3, 0
	v_mov_b32_e32 v11, s14
	s_add_u32 s6, s6, 8
	v_mov_b32_e32 v12, s15
	s_addc_u32 s7, s7, 0
	v_cmp_ge_u64_e32 vcc, s[22:23], v[11:12]
	s_add_u32 s20, s20, 8
	v_add3_u32 v2, v13, v2, v5
	s_addc_u32 s21, s21, 0
	s_cbranch_vccnz .LBB0_8
; %bb.7:                                ;   in Loop: Header=BB0_2 Depth=1
	v_mov_b32_e32 v13, v4
	v_mov_b32_e32 v12, v3
	s_branch .LBB0_2
.LBB0_8:
	s_mov_b32 s0, 0x24924925
	v_mul_hi_u32 v5, v8, s0
	s_load_dwordx2 s[0:1], s[4:5], 0x28
	s_lshl_b64 s[6:7], s[14:15], 3
	s_add_u32 s2, s18, s6
	v_sub_u32_e32 v9, v8, v5
	v_lshrrev_b32_e32 v9, 1, v9
	v_add_u32_e32 v5, v9, v5
	v_lshrrev_b32_e32 v5, 2, v5
	v_mul_lo_u32 v5, v5, 7
	s_waitcnt lgkmcnt(0)
	v_cmp_gt_u64_e32 vcc, s[0:1], v[3:4]
	v_cmp_le_u64_e64 s[0:1], s[0:1], v[3:4]
	s_addc_u32 s3, s19, s7
	v_sub_u32_e32 v8, v8, v5
                                        ; implicit-def: $vgpr5
	s_and_saveexec_b64 s[4:5], s[0:1]
	s_xor_b64 s[0:1], exec, s[4:5]
; %bb.9:
	s_mov_b32 s4, 0x71c71c8
	v_mul_hi_u32 v5, v0, s4
                                        ; implicit-def: $vgpr6_vgpr7
	v_mul_u32_u24_e32 v5, 36, v5
	v_sub_u32_e32 v5, v0, v5
                                        ; implicit-def: $vgpr0
; %bb.10:
	s_or_saveexec_b64 s[4:5], s[0:1]
	s_load_dwordx2 s[2:3], s[2:3], 0x0
	v_mul_u32_u24_e32 v8, 0xd9, v8
	v_lshlrev_b32_e32 v9, 2, v8
	s_xor_b64 exec, exec, s[4:5]
	s_cbranch_execz .LBB0_14
; %bb.11:
	s_add_u32 s0, s16, s6
	s_addc_u32 s1, s17, s7
	s_load_dwordx2 s[0:1], s[0:1], 0x0
	s_mov_b32 s6, 0x71c71c8
	v_mul_hi_u32 v5, v0, s6
	v_lshlrev_b64 v[6:7], 2, v[6:7]
	s_waitcnt lgkmcnt(0)
	v_mul_lo_u32 v12, s1, v3
	v_mul_lo_u32 v13, s0, v4
	v_mad_u64_u32 v[10:11], s[0:1], s0, v3, 0
	v_mul_u32_u24_e32 v5, 36, v5
	v_sub_u32_e32 v5, v0, v5
	v_add3_u32 v11, v11, v13, v12
	v_lshlrev_b64 v[10:11], 2, v[10:11]
	v_mov_b32_e32 v0, s9
	v_add_co_u32_e64 v10, s[0:1], s8, v10
	v_addc_co_u32_e64 v0, s[0:1], v0, v11, s[0:1]
	v_add_co_u32_e64 v6, s[0:1], v10, v6
	v_addc_co_u32_e64 v7, s[0:1], v0, v7, s[0:1]
	v_lshlrev_b32_e32 v0, 2, v5
	v_add_co_u32_e64 v10, s[0:1], v6, v0
	v_addc_co_u32_e64 v11, s[0:1], 0, v7, s[0:1]
	global_load_dword v12, v[10:11], off
	global_load_dword v13, v[10:11], off offset:144
	global_load_dword v14, v[10:11], off offset:288
	;; [unrolled: 1-line block ×5, first 2 shown]
	v_add3_u32 v0, 0, v9, v0
	v_cmp_eq_u32_e64 s[0:1], 35, v5
	s_waitcnt vmcnt(4)
	ds_write2_b32 v0, v12, v13 offset1:36
	s_waitcnt vmcnt(2)
	ds_write2_b32 v0, v14, v15 offset0:72 offset1:108
	s_waitcnt vmcnt(0)
	ds_write2_b32 v0, v16, v17 offset0:144 offset1:180
	s_and_saveexec_b64 s[6:7], s[0:1]
	s_cbranch_execz .LBB0_13
; %bb.12:
	global_load_dword v5, v[6:7], off offset:864
	s_waitcnt vmcnt(0)
	ds_write_b32 v0, v5 offset:724
	v_mov_b32_e32 v5, 35
.LBB0_13:
	s_or_b64 exec, exec, s[6:7]
.LBB0_14:
	s_or_b64 exec, exec, s[4:5]
	v_lshl_add_u32 v0, v8, 2, 0
	v_lshlrev_b32_e32 v11, 2, v5
	v_add_u32_e32 v8, v0, v11
	s_waitcnt lgkmcnt(0)
	s_barrier
	v_sub_u32_e32 v10, v0, v11
	ds_read_u16 v14, v8
	ds_read_u16 v15, v10 offset:864
	v_cmp_ne_u32_e64 s[0:1], 0, v5
                                        ; implicit-def: $vgpr6_vgpr7
	s_waitcnt lgkmcnt(0)
	v_add_f16_e32 v12, v15, v14
	v_sub_f16_e32 v13, v14, v15
	s_and_saveexec_b64 s[4:5], s[0:1]
	s_xor_b64 s[4:5], exec, s[4:5]
	s_cbranch_execz .LBB0_16
; %bb.15:
	v_mov_b32_e32 v6, 0
	v_lshlrev_b64 v[12:13], 2, v[5:6]
	v_mov_b32_e32 v7, s13
	v_add_co_u32_e64 v12, s[0:1], s12, v12
	v_addc_co_u32_e64 v13, s[0:1], v7, v13, s[0:1]
	global_load_dword v7, v[12:13], off offset:840
	ds_read_u16 v12, v10 offset:866
	ds_read_u16 v13, v8 offset:2
	v_add_f16_e32 v16, v15, v14
	v_sub_f16_e32 v14, v14, v15
	s_waitcnt lgkmcnt(0)
	v_add_f16_e32 v15, v12, v13
	v_sub_f16_e32 v12, v13, v12
	s_waitcnt vmcnt(0)
	v_lshrrev_b32_e32 v13, 16, v7
	v_fma_f16 v17, v14, v13, v16
	v_fma_f16 v18, v15, v13, v12
	v_fma_f16 v16, -v14, v13, v16
	v_fma_f16 v19, v15, v13, -v12
	v_fma_f16 v12, -v7, v15, v17
	v_fma_f16 v13, v14, v7, v18
	v_fma_f16 v15, v7, v15, v16
	v_fma_f16 v7, v14, v7, v19
	v_pack_b32_f16 v7, v15, v7
	ds_write_b32 v10, v7 offset:864
	v_mov_b32_e32 v7, v6
	v_mov_b32_e32 v6, v5
.LBB0_16:
	s_andn2_saveexec_b64 s[0:1], s[4:5]
	s_cbranch_execz .LBB0_18
; %bb.17:
	ds_read_b32 v6, v0 offset:432
	s_mov_b32 s4, 0xc0004000
	s_waitcnt lgkmcnt(0)
	v_pk_mul_f16 v14, v6, s4
	v_mov_b32_e32 v6, 0
	v_mov_b32_e32 v7, 0
	ds_write_b32 v0, v14 offset:432
.LBB0_18:
	s_or_b64 exec, exec, s[0:1]
	s_add_u32 s0, s12, 0x348
	v_lshlrev_b64 v[6:7], 2, v[6:7]
	s_addc_u32 s1, s13, 0
	v_mov_b32_e32 v14, s1
	v_add_co_u32_e64 v6, s[0:1], s0, v6
	v_addc_co_u32_e64 v7, s[0:1], v14, v7, s[0:1]
	global_load_dword v14, v[6:7], off offset:144
	global_load_dword v15, v[6:7], off offset:288
	s_mov_b32 s0, 0x5040100
	v_perm_b32 v6, v13, v12, s0
	ds_write_b32 v8, v6
	ds_read_b32 v7, v8 offset:144
	ds_read_b32 v12, v10 offset:720
	v_add3_u32 v6, 0, v11, v9
	s_movk_i32 s0, 0x3aee
	s_mov_b32 s1, 0xffff
	s_mov_b32 s4, 0xbaee3aee
	s_waitcnt lgkmcnt(0)
	v_add_f16_e32 v11, v7, v12
	v_add_f16_sdwa v13, v12, v7 dst_sel:DWORD dst_unused:UNUSED_PAD src0_sel:WORD_1 src1_sel:WORD_1
	v_sub_f16_e32 v16, v7, v12
	v_sub_f16_sdwa v7, v7, v12 dst_sel:DWORD dst_unused:UNUSED_PAD src0_sel:WORD_1 src1_sel:WORD_1
	s_movk_i32 s5, 0xab
	s_waitcnt vmcnt(1)
	v_lshrrev_b32_e32 v12, 16, v14
	v_fma_f16 v17, v16, v12, v11
	v_fma_f16 v18, v13, v12, v7
	v_fma_f16 v11, -v16, v12, v11
	v_fma_f16 v7, v13, v12, -v7
	v_fma_f16 v12, -v14, v13, v17
	v_fma_f16 v17, v16, v14, v18
	v_fma_f16 v11, v14, v13, v11
	v_fma_f16 v7, v16, v14, v7
	v_pack_b32_f16 v12, v12, v17
	v_pack_b32_f16 v7, v11, v7
	ds_write_b32 v8, v12 offset:144
	ds_write_b32 v10, v7 offset:720
	ds_read_b32 v7, v8 offset:288
	ds_read_b32 v11, v10 offset:576
	s_waitcnt vmcnt(0)
	v_lshrrev_b32_e32 v12, 16, v15
	v_mad_u32_u24 v14, v5, 20, v6
	v_mul_lo_u16_sdwa v16, v5, s5 dst_sel:DWORD dst_unused:UNUSED_PAD src0_sel:BYTE_0 src1_sel:DWORD
	s_waitcnt lgkmcnt(0)
	v_add_f16_e32 v13, v7, v11
	v_add_f16_sdwa v17, v11, v7 dst_sel:DWORD dst_unused:UNUSED_PAD src0_sel:WORD_1 src1_sel:WORD_1
	v_sub_f16_e32 v18, v7, v11
	v_sub_f16_sdwa v7, v7, v11 dst_sel:DWORD dst_unused:UNUSED_PAD src0_sel:WORD_1 src1_sel:WORD_1
	v_fma_f16 v11, v18, v12, v13
	v_fma_f16 v19, v17, v12, v7
	v_fma_f16 v13, -v18, v12, v13
	v_fma_f16 v7, v17, v12, -v7
	v_fma_f16 v11, -v15, v17, v11
	v_fma_f16 v12, v18, v15, v19
	v_fma_f16 v13, v15, v17, v13
	;; [unrolled: 1-line block ×3, first 2 shown]
	v_pack_b32_f16 v11, v11, v12
	v_pack_b32_f16 v7, v13, v7
	ds_write_b32 v8, v11 offset:288
	ds_write_b32 v10, v7 offset:576
	s_waitcnt lgkmcnt(0)
	s_barrier
	s_barrier
	ds_read2_b32 v[10:11], v6 offset0:36 offset1:72
	ds_read2_b32 v[12:13], v6 offset0:108 offset1:144
	ds_read_b32 v7, v8
	ds_read_b32 v15, v6 offset:720
	s_waitcnt lgkmcnt(0)
	s_barrier
	v_pk_add_f16 v19, v11, v13
	v_pk_add_f16 v17, v7, v11
	v_pk_add_f16 v11, v11, v13 neg_lo:[0,1] neg_hi:[0,1]
	v_pk_add_f16 v20, v12, v15
	v_pk_add_f16 v18, v10, v12
	v_pk_add_f16 v12, v12, v15 neg_lo:[0,1] neg_hi:[0,1]
	v_pk_fma_f16 v7, v19, 0.5, v7 op_sel_hi:[1,0,1] neg_lo:[1,0,0] neg_hi:[1,0,0]
	v_pk_mul_f16 v11, v11, s0 op_sel_hi:[1,0]
	v_pk_fma_f16 v10, v20, 0.5, v10 op_sel_hi:[1,0,1] neg_lo:[1,0,0] neg_hi:[1,0,0]
	v_pk_add_f16 v13, v17, v13
	v_pk_add_f16 v15, v18, v15
	v_pk_add_f16 v18, v7, v11 op_sel:[0,1] op_sel_hi:[1,0]
	v_pk_add_f16 v7, v7, v11 op_sel:[0,1] op_sel_hi:[1,0] neg_lo:[0,1] neg_hi:[0,1]
	v_pk_fma_f16 v11, v12, s0, v10 op_sel:[0,0,1] op_sel_hi:[1,0,0]
	v_pk_fma_f16 v10, v12, s0, v10 op_sel:[0,0,1] op_sel_hi:[1,0,0] neg_lo:[1,0,0] neg_hi:[1,0,0]
	v_pk_add_f16 v17, v13, v15
	v_pk_add_f16 v12, v13, v15 neg_lo:[0,1] neg_hi:[0,1]
	v_lshrrev_b32_e32 v15, 16, v11
	v_bfi_b32 v11, s1, v11, v10
	v_mul_f16_e32 v19, 0x3aee, v10
	v_fma_f16 v19, v15, 0.5, v19
	v_mul_f16_e32 v15, 0xbaee, v15
	v_pk_mul_f16 v20, v11, 0.5 op_sel_hi:[1,0]
	v_fma_f16 v10, v10, 0.5, v15
	v_pk_fma_f16 v11, v11, s4, v20 op_sel:[0,0,1] op_sel_hi:[1,1,0] neg_lo:[0,0,1] neg_hi:[0,0,1]
	v_add_f16_e32 v21, v18, v19
	v_sub_f16_e32 v15, v18, v19
	v_add_f16_sdwa v19, v7, v10 dst_sel:DWORD dst_unused:UNUSED_PAD src0_sel:WORD_1 src1_sel:DWORD
	v_pack_b32_f16 v10, v10, v11
	v_bfi_b32 v13, s1, v7, v18
	v_sub_f16_sdwa v18, v18, v11 dst_sel:DWORD dst_unused:UNUSED_PAD src0_sel:WORD_1 src1_sel:WORD_1
	v_pk_add_f16 v7, v7, v10 op_sel:[1,0] op_sel_hi:[0,1] neg_lo:[0,1] neg_hi:[0,1]
	v_alignbit_b32 v10, v18, v7, 16
	v_pack_b32_f16 v7, v15, v7
	ds_write2_b32 v14, v7, v10 offset0:4 offset1:5
	v_lshrrev_b16_e32 v7, 10, v16
	v_mul_lo_u16_e32 v10, 6, v7
	v_sub_u16_e32 v18, v5, v10
	v_mov_b32_e32 v10, 5
	v_pk_add_f16 v13, v13, v11
	v_pack_b32_f16 v11, v21, v19
	v_mul_u32_u24_sdwa v10, v18, v10 dst_sel:DWORD dst_unused:UNUSED_PAD src0_sel:BYTE_0 src1_sel:DWORD
	ds_write2_b32 v14, v13, v12 offset0:2 offset1:3
	ds_write2_b32 v14, v17, v11 offset1:1
	v_lshlrev_b32_e32 v14, 2, v10
	s_waitcnt lgkmcnt(0)
	s_barrier
	global_load_dwordx4 v[10:13], v14, s[12:13]
	global_load_dword v19, v14, s[12:13] offset:16
	ds_read2_b32 v[14:15], v6 offset0:36 offset1:72
	ds_read2_b32 v[16:17], v6 offset0:108 offset1:144
	ds_read_b32 v20, v6 offset:720
	ds_read_b32 v21, v8
	s_mov_b32 s1, 0xbaee
	s_movk_i32 s4, 0x90
	s_waitcnt lgkmcnt(2)
	v_lshrrev_b32_e32 v25, 16, v17
	v_lshrrev_b32_e32 v22, 16, v14
	;; [unrolled: 1-line block ×4, first 2 shown]
	s_waitcnt lgkmcnt(1)
	v_lshrrev_b32_e32 v26, 16, v20
	v_mad_u32_u24 v7, v7, s4, 0
	s_waitcnt vmcnt(0) lgkmcnt(0)
	s_barrier
	v_mul_f16_sdwa v27, v10, v22 dst_sel:DWORD dst_unused:UNUSED_PAD src0_sel:WORD_1 src1_sel:DWORD
	v_mul_f16_sdwa v28, v10, v14 dst_sel:DWORD dst_unused:UNUSED_PAD src0_sel:WORD_1 src1_sel:DWORD
	;; [unrolled: 1-line block ×4, first 2 shown]
	v_fma_f16 v14, v10, v14, -v27
	v_mul_f16_sdwa v27, v13, v25 dst_sel:DWORD dst_unused:UNUSED_PAD src0_sel:WORD_1 src1_sel:DWORD
	v_mul_f16_sdwa v31, v12, v24 dst_sel:DWORD dst_unused:UNUSED_PAD src0_sel:WORD_1 src1_sel:DWORD
	v_fma_f16 v15, v11, v15, -v29
	v_mul_f16_sdwa v29, v12, v16 dst_sel:DWORD dst_unused:UNUSED_PAD src0_sel:WORD_1 src1_sel:DWORD
	v_fma_f16 v27, v13, v17, -v27
	v_mul_f16_sdwa v17, v13, v17 dst_sel:DWORD dst_unused:UNUSED_PAD src0_sel:WORD_1 src1_sel:DWORD
	v_fma_f16 v10, v10, v22, v28
	v_mul_f16_sdwa v22, v19, v26 dst_sel:DWORD dst_unused:UNUSED_PAD src0_sel:WORD_1 src1_sel:DWORD
	v_fma_f16 v11, v11, v23, v30
	v_mul_f16_sdwa v23, v19, v20 dst_sel:DWORD dst_unused:UNUSED_PAD src0_sel:WORD_1 src1_sel:DWORD
	v_fma_f16 v16, v12, v16, -v31
	v_lshrrev_b32_e32 v31, 16, v21
	v_fma_f16 v12, v12, v24, v29
	v_fma_f16 v13, v13, v25, v17
	v_fma_f16 v17, v19, v20, -v22
	v_fma_f16 v19, v19, v26, v23
	v_add_f16_e32 v22, v15, v27
	v_sub_f16_e32 v23, v11, v13
	v_add_f16_e32 v24, v31, v11
	v_add_f16_e32 v11, v11, v13
	;; [unrolled: 1-line block ×3, first 2 shown]
	v_sub_f16_e32 v28, v12, v19
	v_add_f16_e32 v29, v10, v12
	v_add_f16_e32 v12, v12, v19
	;; [unrolled: 1-line block ×3, first 2 shown]
	v_sub_f16_e32 v15, v15, v27
	v_add_f16_e32 v25, v14, v16
	v_sub_f16_e32 v16, v16, v17
	v_fma_f16 v21, v22, -0.5, v21
	v_fma_f16 v11, v11, -0.5, v31
	;; [unrolled: 1-line block ×4, first 2 shown]
	v_add_f16_e32 v20, v20, v27
	v_add_f16_e32 v13, v24, v13
	;; [unrolled: 1-line block ×4, first 2 shown]
	v_fma_f16 v12, v23, s0, v21
	v_fma_f16 v21, v23, s1, v21
	;; [unrolled: 1-line block ×8, first 2 shown]
	v_add_f16_e32 v16, v20, v17
	v_sub_f16_e32 v17, v20, v17
	v_add_f16_e32 v20, v13, v19
	v_sub_f16_e32 v13, v13, v19
	v_mul_f16_e32 v19, 0x3aee, v23
	v_mul_f16_e32 v24, 0xbaee, v15
	v_mul_f16_e32 v25, -0.5, v14
	v_mul_f16_e32 v26, -0.5, v10
	v_fma_f16 v15, v15, 0.5, v19
	v_fma_f16 v19, v23, 0.5, v24
	v_fma_f16 v10, v10, s0, v25
	v_fma_f16 v14, v14, s1, v26
	v_add_f16_e32 v23, v12, v15
	v_sub_f16_e32 v12, v12, v15
	v_add_f16_e32 v15, v21, v10
	v_sub_f16_e32 v10, v21, v10
	;; [unrolled: 2-line block ×4, first 2 shown]
	v_mov_b32_e32 v14, 2
	v_lshlrev_b32_sdwa v14, v14, v18 dst_sel:DWORD dst_unused:UNUSED_PAD src0_sel:DWORD src1_sel:BYTE_0
	v_add3_u32 v7, v7, v14, v9
	v_pack_b32_f16 v9, v16, v20
	v_pack_b32_f16 v14, v23, v21
	ds_write2_b32 v7, v9, v14 offset1:6
	v_pack_b32_f16 v9, v15, v22
	v_pack_b32_f16 v13, v17, v13
	ds_write2_b32 v7, v9, v13 offset0:12 offset1:18
	v_pack_b32_f16 v9, v12, v19
	v_pack_b32_f16 v10, v10, v11
	ds_write2_b32 v7, v9, v10 offset0:24 offset1:30
	v_mul_u32_u24_e32 v7, 5, v5
	v_lshlrev_b32_e32 v7, 2, v7
	s_waitcnt lgkmcnt(0)
	s_barrier
	global_load_dwordx4 v[9:12], v7, s[12:13] offset:120
	global_load_dword v17, v7, s[12:13] offset:136
	ds_read2_b32 v[13:14], v6 offset0:36 offset1:72
	ds_read2_b32 v[15:16], v6 offset0:108 offset1:144
	ds_read_b32 v7, v8
	ds_read_b32 v8, v6 offset:720
	s_waitcnt lgkmcnt(0)
	v_lshrrev_b32_e32 v18, 16, v13
	v_lshrrev_b32_e32 v19, 16, v14
	;; [unrolled: 1-line block ×6, first 2 shown]
	s_waitcnt vmcnt(0)
	s_barrier
	v_mul_f16_sdwa v24, v9, v18 dst_sel:DWORD dst_unused:UNUSED_PAD src0_sel:WORD_1 src1_sel:DWORD
	v_mul_f16_sdwa v26, v10, v19 dst_sel:DWORD dst_unused:UNUSED_PAD src0_sel:WORD_1 src1_sel:DWORD
	v_mul_f16_sdwa v25, v9, v13 dst_sel:DWORD dst_unused:UNUSED_PAD src0_sel:WORD_1 src1_sel:DWORD
	v_mul_f16_sdwa v27, v10, v14 dst_sel:DWORD dst_unused:UNUSED_PAD src0_sel:WORD_1 src1_sel:DWORD
	v_mul_f16_sdwa v28, v11, v20 dst_sel:DWORD dst_unused:UNUSED_PAD src0_sel:WORD_1 src1_sel:DWORD
	v_mul_f16_sdwa v30, v11, v15 dst_sel:DWORD dst_unused:UNUSED_PAD src0_sel:WORD_1 src1_sel:DWORD
	v_fma_f16 v13, v9, v13, -v24
	v_fma_f16 v14, v10, v14, -v26
	v_mul_f16_sdwa v24, v17, v23 dst_sel:DWORD dst_unused:UNUSED_PAD src0_sel:WORD_1 src1_sel:DWORD
	v_mul_f16_sdwa v26, v17, v8 dst_sel:DWORD dst_unused:UNUSED_PAD src0_sel:WORD_1 src1_sel:DWORD
	;; [unrolled: 1-line block ×4, first 2 shown]
	v_fma_f16 v15, v11, v15, -v28
	v_fma_f16 v9, v9, v18, v25
	v_fma_f16 v11, v11, v20, v30
	v_fma_f16 v8, v17, v8, -v24
	v_fma_f16 v17, v17, v23, v26
	v_fma_f16 v16, v12, v16, -v29
	v_fma_f16 v10, v10, v19, v27
	v_fma_f16 v12, v12, v21, v31
	v_sub_f16_e32 v25, v11, v17
	v_add_f16_e32 v26, v9, v11
	v_add_f16_e32 v11, v11, v17
	;; [unrolled: 1-line block ×3, first 2 shown]
	v_sub_f16_e32 v20, v10, v12
	v_add_f16_e32 v21, v22, v10
	v_add_f16_e32 v10, v10, v12
	;; [unrolled: 1-line block ×4, first 2 shown]
	v_sub_f16_e32 v15, v15, v8
	v_fma_f16 v9, v11, -0.5, v9
	v_add_f16_e32 v18, v7, v14
	v_sub_f16_e32 v14, v14, v16
	v_fma_f16 v7, v19, -0.5, v7
	v_fma_f16 v10, v10, -0.5, v22
	;; [unrolled: 1-line block ×3, first 2 shown]
	v_fma_f16 v19, v15, s1, v9
	v_add_f16_e32 v16, v18, v16
	v_fma_f16 v11, v20, s0, v7
	v_fma_f16 v7, v20, s1, v7
	v_fma_f16 v18, v14, s1, v10
	v_fma_f16 v10, v14, s0, v10
	v_fma_f16 v14, v25, s0, v13
	v_fma_f16 v13, v25, s1, v13
	v_mul_f16_e32 v20, 0x3aee, v19
	v_add_f16_e32 v12, v21, v12
	v_fma_f16 v9, v15, s0, v9
	v_mul_f16_e32 v21, -0.5, v13
	v_fma_f16 v20, v14, 0.5, v20
	v_mul_f16_e32 v14, 0xbaee, v14
	v_add_f16_e32 v8, v23, v8
	v_add_f16_e32 v17, v26, v17
	v_fma_f16 v21, v9, s0, v21
	v_fma_f16 v14, v19, 0.5, v14
	v_mul_f16_e32 v9, -0.5, v9
	v_add_f16_e32 v15, v16, v8
	v_add_f16_e32 v22, v11, v20
	;; [unrolled: 1-line block ×3, first 2 shown]
	v_fma_f16 v9, v13, s1, v9
	v_add_f16_e32 v13, v18, v14
	v_add_f16_e32 v23, v7, v21
	v_sub_f16_e32 v8, v16, v8
	v_add_f16_e32 v16, v10, v9
	v_sub_f16_e32 v12, v12, v17
	v_sub_f16_e32 v9, v10, v9
	v_pack_b32_f16 v10, v15, v19
	v_pack_b32_f16 v13, v22, v13
	v_sub_f16_e32 v11, v11, v20
	v_sub_f16_e32 v7, v7, v21
	;; [unrolled: 1-line block ×3, first 2 shown]
	ds_write2_b32 v6, v10, v13 offset1:36
	v_pack_b32_f16 v10, v23, v16
	v_pack_b32_f16 v8, v8, v12
	ds_write2_b32 v6, v10, v8 offset0:72 offset1:108
	v_pack_b32_f16 v8, v11, v14
	v_pack_b32_f16 v7, v7, v9
	ds_write2_b32 v6, v8, v7 offset0:144 offset1:180
	s_waitcnt lgkmcnt(0)
	s_barrier
	s_and_saveexec_b64 s[0:1], vcc
	s_cbranch_execz .LBB0_20
; %bb.19:
	v_mul_lo_u32 v6, s3, v3
	v_mul_lo_u32 v7, s2, v4
	v_mad_u64_u32 v[3:4], s[0:1], s2, v3, 0
	v_lshl_add_u32 v9, v5, 2, v0
	v_mov_b32_e32 v0, s11
	v_add3_u32 v4, v4, v7, v6
	v_lshlrev_b64 v[3:4], 2, v[3:4]
	v_mov_b32_e32 v6, 0
	v_add_co_u32_e32 v3, vcc, s10, v3
	v_addc_co_u32_e32 v4, vcc, v0, v4, vcc
	v_lshlrev_b64 v[0:1], 2, v[1:2]
	ds_read2_b32 v[7:8], v9 offset1:36
	v_add_co_u32_e32 v10, vcc, v3, v0
	v_addc_co_u32_e32 v4, vcc, v4, v1, vcc
	v_lshlrev_b64 v[0:1], 2, v[5:6]
	ds_read2_b32 v[2:3], v9 offset0:72 offset1:108
	v_add_co_u32_e32 v0, vcc, v10, v0
	v_addc_co_u32_e32 v1, vcc, v4, v1, vcc
	s_waitcnt lgkmcnt(1)
	global_store_dword v[0:1], v7, off
	v_add_u32_e32 v0, 36, v5
	v_mov_b32_e32 v1, v6
	v_lshlrev_b64 v[0:1], 2, v[0:1]
	v_add_co_u32_e32 v0, vcc, v10, v0
	v_addc_co_u32_e32 v1, vcc, v4, v1, vcc
	global_store_dword v[0:1], v8, off
	v_add_u32_e32 v0, 0x48, v5
	v_mov_b32_e32 v1, v6
	v_lshlrev_b64 v[0:1], 2, v[0:1]
	v_add_co_u32_e32 v0, vcc, v10, v0
	v_addc_co_u32_e32 v1, vcc, v4, v1, vcc
	s_waitcnt lgkmcnt(0)
	global_store_dword v[0:1], v2, off
	v_add_u32_e32 v0, 0x6c, v5
	v_mov_b32_e32 v1, v6
	v_lshlrev_b64 v[0:1], 2, v[0:1]
	v_add_co_u32_e32 v0, vcc, v10, v0
	v_addc_co_u32_e32 v1, vcc, v4, v1, vcc
	global_store_dword v[0:1], v3, off
	v_add_u32_e32 v0, 0x90, v5
	v_mov_b32_e32 v1, v6
	ds_read2_b32 v[2:3], v9 offset0:144 offset1:180
	v_lshlrev_b64 v[0:1], 2, v[0:1]
	v_add_u32_e32 v5, 0xb4, v5
	v_add_co_u32_e32 v0, vcc, v10, v0
	v_addc_co_u32_e32 v1, vcc, v4, v1, vcc
	s_waitcnt lgkmcnt(0)
	global_store_dword v[0:1], v2, off
	v_lshlrev_b64 v[0:1], 2, v[5:6]
	v_add_co_u32_e32 v0, vcc, v10, v0
	v_addc_co_u32_e32 v1, vcc, v4, v1, vcc
	global_store_dword v[0:1], v3, off
.LBB0_20:
	s_endpgm
	.section	.rodata,"a",@progbits
	.p2align	6, 0x0
	.amdhsa_kernel fft_rtc_fwd_len216_factors_6_6_6_wgs_252_tpt_36_halfLds_half_op_CI_CI_unitstride_sbrr_C2R_dirReg
		.amdhsa_group_segment_fixed_size 0
		.amdhsa_private_segment_fixed_size 0
		.amdhsa_kernarg_size 104
		.amdhsa_user_sgpr_count 6
		.amdhsa_user_sgpr_private_segment_buffer 1
		.amdhsa_user_sgpr_dispatch_ptr 0
		.amdhsa_user_sgpr_queue_ptr 0
		.amdhsa_user_sgpr_kernarg_segment_ptr 1
		.amdhsa_user_sgpr_dispatch_id 0
		.amdhsa_user_sgpr_flat_scratch_init 0
		.amdhsa_user_sgpr_private_segment_size 0
		.amdhsa_uses_dynamic_stack 0
		.amdhsa_system_sgpr_private_segment_wavefront_offset 0
		.amdhsa_system_sgpr_workgroup_id_x 1
		.amdhsa_system_sgpr_workgroup_id_y 0
		.amdhsa_system_sgpr_workgroup_id_z 0
		.amdhsa_system_sgpr_workgroup_info 0
		.amdhsa_system_vgpr_workitem_id 0
		.amdhsa_next_free_vgpr 32
		.amdhsa_next_free_sgpr 28
		.amdhsa_reserve_vcc 1
		.amdhsa_reserve_flat_scratch 0
		.amdhsa_float_round_mode_32 0
		.amdhsa_float_round_mode_16_64 0
		.amdhsa_float_denorm_mode_32 3
		.amdhsa_float_denorm_mode_16_64 3
		.amdhsa_dx10_clamp 1
		.amdhsa_ieee_mode 1
		.amdhsa_fp16_overflow 0
		.amdhsa_exception_fp_ieee_invalid_op 0
		.amdhsa_exception_fp_denorm_src 0
		.amdhsa_exception_fp_ieee_div_zero 0
		.amdhsa_exception_fp_ieee_overflow 0
		.amdhsa_exception_fp_ieee_underflow 0
		.amdhsa_exception_fp_ieee_inexact 0
		.amdhsa_exception_int_div_zero 0
	.end_amdhsa_kernel
	.text
.Lfunc_end0:
	.size	fft_rtc_fwd_len216_factors_6_6_6_wgs_252_tpt_36_halfLds_half_op_CI_CI_unitstride_sbrr_C2R_dirReg, .Lfunc_end0-fft_rtc_fwd_len216_factors_6_6_6_wgs_252_tpt_36_halfLds_half_op_CI_CI_unitstride_sbrr_C2R_dirReg
                                        ; -- End function
	.section	.AMDGPU.csdata,"",@progbits
; Kernel info:
; codeLenInByte = 4196
; NumSgprs: 32
; NumVgprs: 32
; ScratchSize: 0
; MemoryBound: 0
; FloatMode: 240
; IeeeMode: 1
; LDSByteSize: 0 bytes/workgroup (compile time only)
; SGPRBlocks: 3
; VGPRBlocks: 7
; NumSGPRsForWavesPerEU: 32
; NumVGPRsForWavesPerEU: 32
; Occupancy: 8
; WaveLimiterHint : 1
; COMPUTE_PGM_RSRC2:SCRATCH_EN: 0
; COMPUTE_PGM_RSRC2:USER_SGPR: 6
; COMPUTE_PGM_RSRC2:TRAP_HANDLER: 0
; COMPUTE_PGM_RSRC2:TGID_X_EN: 1
; COMPUTE_PGM_RSRC2:TGID_Y_EN: 0
; COMPUTE_PGM_RSRC2:TGID_Z_EN: 0
; COMPUTE_PGM_RSRC2:TIDIG_COMP_CNT: 0
	.type	__hip_cuid_fbc8c06004fada7c,@object ; @__hip_cuid_fbc8c06004fada7c
	.section	.bss,"aw",@nobits
	.globl	__hip_cuid_fbc8c06004fada7c
__hip_cuid_fbc8c06004fada7c:
	.byte	0                               ; 0x0
	.size	__hip_cuid_fbc8c06004fada7c, 1

	.ident	"AMD clang version 19.0.0git (https://github.com/RadeonOpenCompute/llvm-project roc-6.4.0 25133 c7fe45cf4b819c5991fe208aaa96edf142730f1d)"
	.section	".note.GNU-stack","",@progbits
	.addrsig
	.addrsig_sym __hip_cuid_fbc8c06004fada7c
	.amdgpu_metadata
---
amdhsa.kernels:
  - .args:
      - .actual_access:  read_only
        .address_space:  global
        .offset:         0
        .size:           8
        .value_kind:     global_buffer
      - .offset:         8
        .size:           8
        .value_kind:     by_value
      - .actual_access:  read_only
        .address_space:  global
        .offset:         16
        .size:           8
        .value_kind:     global_buffer
      - .actual_access:  read_only
        .address_space:  global
        .offset:         24
        .size:           8
        .value_kind:     global_buffer
      - .actual_access:  read_only
        .address_space:  global
        .offset:         32
        .size:           8
        .value_kind:     global_buffer
      - .offset:         40
        .size:           8
        .value_kind:     by_value
      - .actual_access:  read_only
        .address_space:  global
        .offset:         48
        .size:           8
        .value_kind:     global_buffer
      - .actual_access:  read_only
        .address_space:  global
        .offset:         56
        .size:           8
        .value_kind:     global_buffer
      - .offset:         64
        .size:           4
        .value_kind:     by_value
      - .actual_access:  read_only
        .address_space:  global
        .offset:         72
        .size:           8
        .value_kind:     global_buffer
      - .actual_access:  read_only
        .address_space:  global
        .offset:         80
        .size:           8
        .value_kind:     global_buffer
      - .actual_access:  read_only
        .address_space:  global
        .offset:         88
        .size:           8
        .value_kind:     global_buffer
      - .actual_access:  write_only
        .address_space:  global
        .offset:         96
        .size:           8
        .value_kind:     global_buffer
    .group_segment_fixed_size: 0
    .kernarg_segment_align: 8
    .kernarg_segment_size: 104
    .language:       OpenCL C
    .language_version:
      - 2
      - 0
    .max_flat_workgroup_size: 252
    .name:           fft_rtc_fwd_len216_factors_6_6_6_wgs_252_tpt_36_halfLds_half_op_CI_CI_unitstride_sbrr_C2R_dirReg
    .private_segment_fixed_size: 0
    .sgpr_count:     32
    .sgpr_spill_count: 0
    .symbol:         fft_rtc_fwd_len216_factors_6_6_6_wgs_252_tpt_36_halfLds_half_op_CI_CI_unitstride_sbrr_C2R_dirReg.kd
    .uniform_work_group_size: 1
    .uses_dynamic_stack: false
    .vgpr_count:     32
    .vgpr_spill_count: 0
    .wavefront_size: 64
amdhsa.target:   amdgcn-amd-amdhsa--gfx906
amdhsa.version:
  - 1
  - 2
...

	.end_amdgpu_metadata
